;; amdgpu-corpus repo=ROCm/rocFFT kind=compiled arch=gfx1201 opt=O3
	.text
	.amdgcn_target "amdgcn-amd-amdhsa--gfx1201"
	.amdhsa_code_object_version 6
	.protected	fft_rtc_back_len104_factors_13_8_wgs_208_tpt_13_sp_ip_CI_sbcc_twdbase5_3step ; -- Begin function fft_rtc_back_len104_factors_13_8_wgs_208_tpt_13_sp_ip_CI_sbcc_twdbase5_3step
	.globl	fft_rtc_back_len104_factors_13_8_wgs_208_tpt_13_sp_ip_CI_sbcc_twdbase5_3step
	.p2align	8
	.type	fft_rtc_back_len104_factors_13_8_wgs_208_tpt_13_sp_ip_CI_sbcc_twdbase5_3step,@function
fft_rtc_back_len104_factors_13_8_wgs_208_tpt_13_sp_ip_CI_sbcc_twdbase5_3step: ; @fft_rtc_back_len104_factors_13_8_wgs_208_tpt_13_sp_ip_CI_sbcc_twdbase5_3step
; %bb.0:
	s_load_b256 s[4:11], s[0:1], 0x8
	s_mov_b32 s18, ttmp9
	s_mov_b32 s2, exec_lo
	v_cmpx_gt_u32_e32 0x60, v0
	s_cbranch_execz .LBB0_2
; %bb.1:
	v_lshlrev_b32_e32 v3, 3, v0
	s_wait_kmcnt 0x0
	global_load_b64 v[1:2], v3, s[4:5]
	v_add_nc_u32_e32 v3, 0, v3
	s_wait_loadcnt 0x0
	ds_store_b64 v3, v[1:2] offset:13312
.LBB0_2:
	s_or_b32 exec_lo, exec_lo, s2
	s_wait_kmcnt 0x0
	s_load_b64 s[2:3], s[8:9], 0x8
	s_mov_b32 s19, 0
	s_mov_b64 s[24:25], 0
	s_wait_kmcnt 0x0
	s_add_nc_u64 s[4:5], s[2:3], -1
	s_delay_alu instid0(SALU_CYCLE_1) | instskip(NEXT) | instid1(SALU_CYCLE_1)
	s_lshr_b64 s[4:5], s[4:5], 4
	s_add_nc_u64 s[20:21], s[4:5], 1
	s_delay_alu instid0(SALU_CYCLE_1) | instskip(NEXT) | instid1(VALU_DEP_1)
	v_cmp_lt_u64_e64 s4, s[18:19], s[20:21]
	s_and_b32 vcc_lo, exec_lo, s4
	s_cbranch_vccnz .LBB0_4
; %bb.3:
	v_cvt_f32_u32_e32 v1, s20
	s_sub_co_i32 s5, 0, s20
	s_mov_b32 s25, s19
	s_delay_alu instid0(VALU_DEP_1) | instskip(NEXT) | instid1(TRANS32_DEP_1)
	v_rcp_iflag_f32_e32 v1, v1
	v_mul_f32_e32 v1, 0x4f7ffffe, v1
	s_delay_alu instid0(VALU_DEP_1) | instskip(NEXT) | instid1(VALU_DEP_1)
	v_cvt_u32_f32_e32 v1, v1
	v_readfirstlane_b32 s4, v1
	s_delay_alu instid0(VALU_DEP_1) | instskip(NEXT) | instid1(SALU_CYCLE_1)
	s_mul_i32 s5, s5, s4
	s_mul_hi_u32 s5, s4, s5
	s_delay_alu instid0(SALU_CYCLE_1) | instskip(NEXT) | instid1(SALU_CYCLE_1)
	s_add_co_i32 s4, s4, s5
	s_mul_hi_u32 s4, s18, s4
	s_delay_alu instid0(SALU_CYCLE_1) | instskip(SKIP_2) | instid1(SALU_CYCLE_1)
	s_mul_i32 s5, s4, s20
	s_add_co_i32 s12, s4, 1
	s_sub_co_i32 s5, s18, s5
	s_sub_co_i32 s13, s5, s20
	s_cmp_ge_u32 s5, s20
	s_cselect_b32 s4, s12, s4
	s_cselect_b32 s5, s13, s5
	s_add_co_i32 s12, s4, 1
	s_cmp_ge_u32 s5, s20
	s_cselect_b32 s24, s12, s4
.LBB0_4:
	s_load_b128 s[12:15], s[10:11], 0x0
	s_load_b64 s[16:17], s[0:1], 0x0
	v_cmp_lt_u64_e64 s22, s[6:7], 3
	s_mul_u64 s[4:5], s[24:25], s[20:21]
	s_delay_alu instid0(SALU_CYCLE_1) | instskip(NEXT) | instid1(SALU_CYCLE_1)
	s_sub_nc_u64 s[4:5], s[18:19], s[4:5]
	s_lshl_b64 s[4:5], s[4:5], 4
	s_delay_alu instid0(VALU_DEP_1)
	s_and_b32 vcc_lo, exec_lo, s22
	s_wait_kmcnt 0x0
	s_mul_u64 s[22:23], s[14:15], s[4:5]
	s_cbranch_vccnz .LBB0_14
; %bb.5:
	s_add_nc_u64 s[26:27], s[10:11], 16
	s_add_nc_u64 s[8:9], s[8:9], 16
	s_mov_b64 s[28:29], 2
	s_mov_b32 s30, 0
.LBB0_6:                                ; =>This Inner Loop Header: Depth=1
	s_load_b64 s[34:35], s[8:9], 0x0
                                        ; implicit-def: $sgpr38_sgpr39
	s_wait_kmcnt 0x0
	s_or_b64 s[36:37], s[24:25], s[34:35]
	s_delay_alu instid0(SALU_CYCLE_1)
	s_mov_b32 s31, s37
	s_mov_b32 s37, -1
	s_wait_alu 0xfffe
	s_cmp_lg_u64 s[30:31], 0
	s_cbranch_scc0 .LBB0_8
; %bb.7:                                ;   in Loop: Header=BB0_6 Depth=1
	s_cvt_f32_u32 s31, s34
	s_cvt_f32_u32 s33, s35
	s_sub_nc_u64 s[40:41], 0, s[34:35]
	s_mov_b32 s37, 0
	s_mov_b32 s45, s30
	s_wait_alu 0xfffe
	s_fmamk_f32 s31, s33, 0x4f800000, s31
	s_wait_alu 0xfffe
	s_delay_alu instid0(SALU_CYCLE_2) | instskip(NEXT) | instid1(TRANS32_DEP_1)
	v_s_rcp_f32 s31, s31
	s_mul_f32 s31, s31, 0x5f7ffffc
	s_wait_alu 0xfffe
	s_delay_alu instid0(SALU_CYCLE_2) | instskip(NEXT) | instid1(SALU_CYCLE_3)
	s_mul_f32 s33, s31, 0x2f800000
	s_trunc_f32 s33, s33
	s_delay_alu instid0(SALU_CYCLE_3) | instskip(SKIP_2) | instid1(SALU_CYCLE_1)
	s_fmamk_f32 s31, s33, 0xcf800000, s31
	s_cvt_u32_f32 s39, s33
	s_wait_alu 0xfffe
	s_cvt_u32_f32 s38, s31
	s_wait_alu 0xfffe
	s_delay_alu instid0(SALU_CYCLE_2)
	s_mul_u64 s[42:43], s[40:41], s[38:39]
	s_wait_alu 0xfffe
	s_mul_hi_u32 s47, s38, s43
	s_mul_i32 s46, s38, s43
	s_mul_hi_u32 s36, s38, s42
	s_mul_i32 s33, s39, s42
	s_add_nc_u64 s[46:47], s[36:37], s[46:47]
	s_mul_hi_u32 s31, s39, s42
	s_mul_hi_u32 s48, s39, s43
	s_add_co_u32 s33, s46, s33
	s_wait_alu 0xfffe
	s_add_co_ci_u32 s44, s47, s31
	s_mul_i32 s42, s39, s43
	s_add_co_ci_u32 s43, s48, 0
	s_wait_alu 0xfffe
	s_add_nc_u64 s[42:43], s[44:45], s[42:43]
	s_wait_alu 0xfffe
	v_add_co_u32 v1, s31, s38, s42
	s_delay_alu instid0(VALU_DEP_1) | instskip(SKIP_1) | instid1(VALU_DEP_1)
	s_cmp_lg_u32 s31, 0
	s_add_co_ci_u32 s39, s39, s43
	v_readfirstlane_b32 s38, v1
	s_mov_b32 s43, s30
	s_wait_alu 0xfffe
	s_delay_alu instid0(VALU_DEP_1)
	s_mul_u64 s[40:41], s[40:41], s[38:39]
	s_wait_alu 0xfffe
	s_mul_hi_u32 s45, s38, s41
	s_mul_i32 s44, s38, s41
	s_mul_hi_u32 s36, s38, s40
	s_mul_i32 s33, s39, s40
	s_add_nc_u64 s[44:45], s[36:37], s[44:45]
	s_mul_hi_u32 s31, s39, s40
	s_mul_hi_u32 s38, s39, s41
	s_add_co_u32 s33, s44, s33
	s_wait_alu 0xfffe
	s_add_co_ci_u32 s42, s45, s31
	s_mul_i32 s40, s39, s41
	s_add_co_ci_u32 s41, s38, 0
	s_wait_alu 0xfffe
	s_add_nc_u64 s[40:41], s[42:43], s[40:41]
	s_wait_alu 0xfffe
	v_add_co_u32 v1, s31, v1, s40
	s_delay_alu instid0(VALU_DEP_1) | instskip(SKIP_1) | instid1(VALU_DEP_1)
	s_cmp_lg_u32 s31, 0
	s_add_co_ci_u32 s31, s39, s41
	v_readfirstlane_b32 s33, v1
	s_wait_alu 0xfffe
	s_mul_hi_u32 s39, s24, s31
	s_mul_i32 s38, s24, s31
	s_mul_hi_u32 s41, s25, s31
	s_mul_i32 s40, s25, s31
	;; [unrolled: 2-line block ×3, first 2 shown]
	s_wait_alu 0xfffe
	s_add_nc_u64 s[38:39], s[36:37], s[38:39]
	s_mul_hi_u32 s33, s25, s33
	s_wait_alu 0xfffe
	s_add_co_u32 s31, s38, s31
	s_add_co_ci_u32 s42, s39, s33
	s_add_co_ci_u32 s41, s41, 0
	s_wait_alu 0xfffe
	s_add_nc_u64 s[38:39], s[42:43], s[40:41]
	s_wait_alu 0xfffe
	s_mul_u64 s[40:41], s[34:35], s[38:39]
	s_add_nc_u64 s[42:43], s[38:39], 1
	s_wait_alu 0xfffe
	v_sub_co_u32 v1, s31, s24, s40
	s_sub_co_i32 s33, s25, s41
	s_cmp_lg_u32 s31, 0
	s_add_nc_u64 s[44:45], s[38:39], 2
	s_delay_alu instid0(VALU_DEP_1) | instskip(SKIP_2) | instid1(VALU_DEP_1)
	v_sub_co_u32 v2, s36, v1, s34
	s_sub_co_ci_u32 s33, s33, s35
	s_cmp_lg_u32 s36, 0
	v_readfirstlane_b32 s36, v2
	s_sub_co_ci_u32 s33, s33, 0
	s_delay_alu instid0(SALU_CYCLE_1) | instskip(SKIP_1) | instid1(VALU_DEP_1)
	s_cmp_ge_u32 s33, s35
	s_cselect_b32 s40, -1, 0
	s_cmp_ge_u32 s36, s34
	s_cselect_b32 s36, -1, 0
	s_cmp_eq_u32 s33, s35
	s_wait_alu 0xfffe
	s_cselect_b32 s33, s36, s40
	s_delay_alu instid0(SALU_CYCLE_1)
	s_cmp_lg_u32 s33, 0
	s_cselect_b32 s33, s44, s42
	s_cselect_b32 s36, s45, s43
	s_cmp_lg_u32 s31, 0
	v_readfirstlane_b32 s31, v1
	s_sub_co_ci_u32 s40, s25, s41
	s_wait_alu 0xfffe
	s_cmp_ge_u32 s40, s35
	s_cselect_b32 s41, -1, 0
	s_cmp_ge_u32 s31, s34
	s_cselect_b32 s31, -1, 0
	s_cmp_eq_u32 s40, s35
	s_wait_alu 0xfffe
	s_cselect_b32 s31, s31, s41
	s_wait_alu 0xfffe
	s_cmp_lg_u32 s31, 0
	s_cselect_b32 s39, s36, s39
	s_cselect_b32 s38, s33, s38
.LBB0_8:                                ;   in Loop: Header=BB0_6 Depth=1
	s_and_not1_b32 vcc_lo, exec_lo, s37
	s_cbranch_vccnz .LBB0_10
; %bb.9:                                ;   in Loop: Header=BB0_6 Depth=1
	v_cvt_f32_u32_e32 v1, s34
	s_sub_co_i32 s33, 0, s34
	s_mov_b32 s39, s30
	s_delay_alu instid0(VALU_DEP_1) | instskip(NEXT) | instid1(TRANS32_DEP_1)
	v_rcp_iflag_f32_e32 v1, v1
	v_mul_f32_e32 v1, 0x4f7ffffe, v1
	s_delay_alu instid0(VALU_DEP_1) | instskip(NEXT) | instid1(VALU_DEP_1)
	v_cvt_u32_f32_e32 v1, v1
	v_readfirstlane_b32 s31, v1
	s_delay_alu instid0(VALU_DEP_1) | instskip(NEXT) | instid1(SALU_CYCLE_1)
	s_mul_i32 s33, s33, s31
	s_mul_hi_u32 s33, s31, s33
	s_delay_alu instid0(SALU_CYCLE_1)
	s_add_co_i32 s31, s31, s33
	s_wait_alu 0xfffe
	s_mul_hi_u32 s31, s24, s31
	s_wait_alu 0xfffe
	s_mul_i32 s33, s31, s34
	s_add_co_i32 s36, s31, 1
	s_sub_co_i32 s33, s24, s33
	s_delay_alu instid0(SALU_CYCLE_1)
	s_sub_co_i32 s37, s33, s34
	s_cmp_ge_u32 s33, s34
	s_cselect_b32 s31, s36, s31
	s_cselect_b32 s33, s37, s33
	s_wait_alu 0xfffe
	s_add_co_i32 s36, s31, 1
	s_cmp_ge_u32 s33, s34
	s_cselect_b32 s38, s36, s31
.LBB0_10:                               ;   in Loop: Header=BB0_6 Depth=1
	s_load_b64 s[36:37], s[26:27], 0x0
	s_add_nc_u64 s[28:29], s[28:29], 1
	s_mul_u64 s[20:21], s[34:35], s[20:21]
	s_wait_alu 0xfffe
	v_cmp_ge_u64_e64 s31, s[28:29], s[6:7]
	s_mul_u64 s[34:35], s[38:39], s[34:35]
	s_add_nc_u64 s[26:27], s[26:27], 8
	s_wait_alu 0xfffe
	s_sub_nc_u64 s[24:25], s[24:25], s[34:35]
	s_add_nc_u64 s[8:9], s[8:9], 8
	s_and_b32 vcc_lo, exec_lo, s31
	s_wait_kmcnt 0x0
	s_wait_alu 0xfffe
	s_mul_u64 s[24:25], s[36:37], s[24:25]
	s_wait_alu 0xfffe
	s_add_nc_u64 s[22:23], s[24:25], s[22:23]
	s_cbranch_vccnz .LBB0_12
; %bb.11:                               ;   in Loop: Header=BB0_6 Depth=1
	s_mov_b64 s[24:25], s[38:39]
	s_branch .LBB0_6
.LBB0_12:
	v_cmp_lt_u64_e64 s8, s[18:19], s[20:21]
	s_mov_b64 s[24:25], 0
	s_delay_alu instid0(VALU_DEP_1)
	s_and_b32 vcc_lo, exec_lo, s8
	s_cbranch_vccnz .LBB0_14
; %bb.13:
	v_cvt_f32_u32_e32 v1, s20
	s_sub_co_i32 s9, 0, s20
	s_mov_b32 s25, 0
	s_delay_alu instid0(VALU_DEP_1) | instskip(NEXT) | instid1(TRANS32_DEP_1)
	v_rcp_iflag_f32_e32 v1, v1
	v_mul_f32_e32 v1, 0x4f7ffffe, v1
	s_delay_alu instid0(VALU_DEP_1) | instskip(NEXT) | instid1(VALU_DEP_1)
	v_cvt_u32_f32_e32 v1, v1
	v_readfirstlane_b32 s8, v1
	s_delay_alu instid0(VALU_DEP_1) | instskip(NEXT) | instid1(SALU_CYCLE_1)
	s_mul_i32 s9, s9, s8
	s_mul_hi_u32 s9, s8, s9
	s_delay_alu instid0(SALU_CYCLE_1) | instskip(NEXT) | instid1(SALU_CYCLE_1)
	s_add_co_i32 s8, s8, s9
	s_mul_hi_u32 s8, s18, s8
	s_delay_alu instid0(SALU_CYCLE_1) | instskip(NEXT) | instid1(SALU_CYCLE_1)
	s_mul_i32 s9, s8, s20
	s_sub_co_i32 s9, s18, s9
	s_add_co_i32 s18, s8, 1
	s_sub_co_i32 s19, s9, s20
	s_cmp_ge_u32 s9, s20
	s_wait_alu 0xfffe
	s_cselect_b32 s8, s18, s8
	s_cselect_b32 s9, s19, s9
	s_add_co_i32 s18, s8, 1
	s_cmp_ge_u32 s9, s20
	s_wait_alu 0xfffe
	s_cselect_b32 s24, s18, s8
.LBB0_14:
	s_lshl_b64 s[6:7], s[6:7], 3
	s_load_b64 s[0:1], s[0:1], 0x58
	s_add_nc_u64 s[6:7], s[10:11], s[6:7]
	v_and_b32_e32 v36, 15, v0
	s_load_b64 s[6:7], s[6:7], 0x0
	v_lshrrev_b32_e32 v35, 4, v0
	v_mov_b32_e32 v2, s5
	s_add_nc_u64 s[8:9], s[4:5], 16
	v_or_b32_e32 v1, s4, v36
	v_cmp_le_u64_e64 s5, s[8:9], s[2:3]
	v_add_nc_u32_e32 v33, 13, v35
	v_mul_u32_u24_e32 v37, 0x340, v36
	v_lshlrev_b32_e32 v38, 3, v35
	v_cmp_gt_u64_e32 vcc_lo, s[2:3], v[1:2]
	v_add_nc_u32_e32 v34, 26, v35
	v_add_nc_u32_e32 v32, 39, v35
	;; [unrolled: 1-line block ×6, first 2 shown]
	s_or_b32 s5, s5, vcc_lo
	s_wait_kmcnt 0x0
	s_mul_u64 s[2:3], s[6:7], s[24:25]
	s_wait_alu 0xfffe
	s_add_nc_u64 s[2:3], s[2:3], s[22:23]
	s_and_saveexec_b32 s6, s5
	s_cbranch_execz .LBB0_16
; %bb.15:
	v_mad_co_u64_u32 v[1:2], null, s14, v36, 0
	v_mad_co_u64_u32 v[3:4], null, s12, v35, 0
	;; [unrolled: 1-line block ×3, first 2 shown]
	s_wait_alu 0xfffe
	s_lshl_b64 s[8:9], s[2:3], 3
	v_mad_co_u64_u32 v[14:15], null, s12, v30, 0
	v_mad_co_u64_u32 v[16:17], null, s12, v29, 0
	s_delay_alu instid0(VALU_DEP_4) | instskip(NEXT) | instid1(VALU_DEP_4)
	v_mad_co_u64_u32 v[7:8], null, s15, v36, v[2:3]
	v_mov_b32_e32 v2, v6
	v_mad_co_u64_u32 v[8:9], null, s12, v34, 0
	v_mad_co_u64_u32 v[10:11], null, s13, v35, v[4:5]
	s_delay_alu instid0(VALU_DEP_3) | instskip(SKIP_4) | instid1(VALU_DEP_4)
	v_mad_co_u64_u32 v[11:12], null, s13, v33, v[2:3]
	v_mov_b32_e32 v2, v7
	v_mad_co_u64_u32 v[12:13], null, s12, v32, 0
	v_mov_b32_e32 v6, v9
	v_mov_b32_e32 v4, v10
	v_lshlrev_b64_e32 v[1:2], 3, v[1:2]
	s_wait_alu 0xfffe
	s_add_nc_u64 s[8:9], s[0:1], s[8:9]
	v_mad_co_u64_u32 v[9:10], null, s13, v34, v[6:7]
	v_mov_b32_e32 v6, v11
	s_wait_alu 0xfffe
	v_add_co_u32 v23, vcc_lo, s8, v1
	v_add_co_ci_u32_e32 v24, vcc_lo, s9, v2, vcc_lo
	s_delay_alu instid0(VALU_DEP_3) | instskip(SKIP_2) | instid1(VALU_DEP_1)
	v_lshlrev_b64_e32 v[1:2], 3, v[5:6]
	v_mad_co_u64_u32 v[6:7], null, s12, v31, 0
	v_mov_b32_e32 v5, v13
	v_mad_co_u64_u32 v[10:11], null, s13, v32, v[5:6]
	s_delay_alu instid0(VALU_DEP_3)
	v_mov_b32_e32 v5, v7
	v_lshlrev_b64_e32 v[7:8], 3, v[8:9]
	v_mov_b32_e32 v9, v15
	v_lshlrev_b64_e32 v[3:4], 3, v[3:4]
	v_mov_b32_e32 v13, v10
	v_mad_co_u64_u32 v[10:11], null, s13, v31, v[5:6]
	v_mov_b32_e32 v5, v17
	s_delay_alu instid0(VALU_DEP_4)
	v_add_co_u32 v3, vcc_lo, v23, v3
	s_wait_alu 0xfffd
	v_add_co_ci_u32_e32 v4, vcc_lo, v24, v4, vcc_lo
	v_add_co_u32 v1, vcc_lo, v23, v1
	v_mad_co_u64_u32 v[18:19], null, s13, v30, v[9:10]
	v_mad_co_u64_u32 v[19:20], null, s12, v28, 0
	s_wait_alu 0xfffd
	v_add_co_ci_u32_e32 v2, vcc_lo, v24, v2, vcc_lo
	v_add_co_u32 v21, vcc_lo, v23, v7
	v_mov_b32_e32 v7, v10
	v_mad_co_u64_u32 v[10:11], null, s13, v29, v[5:6]
	v_mov_b32_e32 v5, v20
	s_wait_alu 0xfffd
	v_add_co_ci_u32_e32 v22, vcc_lo, v24, v8, vcc_lo
	v_lshlrev_b64_e32 v[6:7], 3, v[6:7]
	v_lshlrev_b64_e32 v[8:9], 3, v[12:13]
	v_mov_b32_e32 v15, v18
	v_mov_b32_e32 v17, v10
	s_delay_alu instid0(VALU_DEP_4) | instskip(NEXT) | instid1(VALU_DEP_4)
	v_mad_co_u64_u32 v[11:12], null, s13, v28, v[5:6]
	v_add_co_u32 v8, vcc_lo, v23, v8
	s_delay_alu instid0(VALU_DEP_4)
	v_lshlrev_b64_e32 v[12:13], 3, v[14:15]
	s_wait_alu 0xfffd
	v_add_co_ci_u32_e32 v9, vcc_lo, v24, v9, vcc_lo
	v_add_co_u32 v5, vcc_lo, v23, v6
	v_mov_b32_e32 v20, v11
	s_wait_alu 0xfffd
	v_add_co_ci_u32_e32 v6, vcc_lo, v24, v7, vcc_lo
	v_lshlrev_b64_e32 v[14:15], 3, v[16:17]
	v_add_co_u32 v10, vcc_lo, v23, v12
	s_wait_alu 0xfffd
	v_add_co_ci_u32_e32 v11, vcc_lo, v24, v13, vcc_lo
	v_lshlrev_b64_e32 v[12:13], 3, v[19:20]
	s_delay_alu instid0(VALU_DEP_4) | instskip(SKIP_2) | instid1(VALU_DEP_3)
	v_add_co_u32 v14, vcc_lo, v23, v14
	s_wait_alu 0xfffd
	v_add_co_ci_u32_e32 v15, vcc_lo, v24, v15, vcc_lo
	v_add_co_u32 v12, vcc_lo, v23, v12
	s_wait_alu 0xfffd
	v_add_co_ci_u32_e32 v13, vcc_lo, v24, v13, vcc_lo
	s_clause 0x7
	global_load_b64 v[3:4], v[3:4], off
	global_load_b64 v[1:2], v[1:2], off
	;; [unrolled: 1-line block ×8, first 2 shown]
	v_add3_u32 v13, 0, v37, v38
	s_wait_loadcnt 0x6
	ds_store_2addr_b64 v13, v[3:4], v[1:2] offset1:13
	s_wait_loadcnt 0x4
	ds_store_2addr_b64 v13, v[16:17], v[7:8] offset0:26 offset1:39
	s_wait_loadcnt 0x2
	ds_store_2addr_b64 v13, v[5:6], v[9:10] offset0:52 offset1:65
	;; [unrolled: 2-line block ×3, first 2 shown]
.LBB0_16:
	s_wait_alu 0xfffe
	s_or_b32 exec_lo, exec_lo, s6
	v_mul_hi_u32 v41, 0x13b13b14, v0
	global_wb scope:SCOPE_SE
	s_wait_dscnt 0x0
	s_barrier_signal -1
	s_barrier_wait -1
	global_inv scope:SCOPE_SE
	s_mov_b32 s6, exec_lo
	v_and_b32_e32 v1, 15, v41
	v_mul_u32_u24_e32 v2, 13, v41
	s_delay_alu instid0(VALU_DEP_2) | instskip(NEXT) | instid1(VALU_DEP_2)
	v_mul_u32_u24_e32 v1, 0x68, v1
	v_sub_nc_u32_e32 v42, v0, v2
	s_delay_alu instid0(VALU_DEP_2) | instskip(NEXT) | instid1(VALU_DEP_2)
	v_lshlrev_b32_e32 v43, 3, v1
	v_lshlrev_b32_e32 v0, 3, v42
	s_delay_alu instid0(VALU_DEP_1)
	v_add3_u32 v40, 0, v43, v0
	v_add3_u32 v39, 0, v0, v43
	ds_load_b64 v[24:25], v40
	ds_load_2addr_b64 v[20:23], v39 offset0:8 offset1:16
	ds_load_2addr_b64 v[16:19], v39 offset0:24 offset1:32
	ds_load_2addr_b64 v[12:15], v39 offset0:40 offset1:48
	ds_load_2addr_b64 v[8:11], v39 offset0:56 offset1:64
	ds_load_2addr_b64 v[4:7], v39 offset0:72 offset1:80
	ds_load_2addr_b64 v[0:3], v39 offset0:88 offset1:96
	global_wb scope:SCOPE_SE
	s_wait_dscnt 0x0
	s_barrier_signal -1
	s_barrier_wait -1
	global_inv scope:SCOPE_SE
	v_cmpx_gt_u32_e32 8, v42
	s_cbranch_execz .LBB0_18
; %bb.17:
	v_dual_add_f32 v84, v3, v21 :: v_dual_add_f32 v83, v1, v23
	v_dual_sub_f32 v48, v20, v2 :: v_dual_sub_f32 v45, v22, v0
	s_delay_alu instid0(VALU_DEP_2) | instskip(NEXT) | instid1(VALU_DEP_3)
	v_dual_add_f32 v82, v7, v17 :: v_dual_mul_f32 v59, 0xbf788fa5, v84
	v_dual_mul_f32 v62, 0x3f62ad3f, v83 :: v_dual_add_f32 v49, v2, v20
	v_dual_sub_f32 v46, v16, v6 :: v_dual_add_f32 v81, v11, v13
	s_delay_alu instid0(VALU_DEP_3) | instskip(SKIP_3) | instid1(VALU_DEP_4)
	v_dual_fmamk_f32 v26, v48, 0x3e750f2a, v59 :: v_dual_sub_f32 v87, v21, v3
	v_dual_add_f32 v80, v5, v19 :: v_dual_sub_f32 v47, v12, v10
	v_dual_sub_f32 v44, v18, v4 :: v_dual_mul_f32 v63, 0xbf3f9e67, v82
	v_dual_fmamk_f32 v27, v45, 0xbeedf032, v62 :: v_dual_add_f32 v50, v0, v22
	v_add_f32_e32 v26, v25, v26
	s_delay_alu instid0(VALU_DEP_4) | instskip(NEXT) | instid1(VALU_DEP_4)
	v_dual_mul_f32 v56, 0x3f116cb1, v80 :: v_dual_sub_f32 v89, v17, v7
	v_fmamk_f32 v51, v46, 0x3f29c268, v63
	s_delay_alu instid0(VALU_DEP_3) | instskip(NEXT) | instid1(VALU_DEP_3)
	v_dual_mul_f32 v77, 0xbe750f2a, v87 :: v_dual_add_f32 v26, v27, v26
	v_dual_sub_f32 v88, v23, v1 :: v_dual_fmamk_f32 v27, v44, 0xbf52af12, v56
	v_mul_f32_e32 v57, 0xbeb58ec6, v81
	v_dual_mul_f32 v79, 0xbf29c268, v89 :: v_dual_add_f32 v86, v9, v15
	s_delay_alu instid0(VALU_DEP_4) | instskip(SKIP_2) | instid1(VALU_DEP_4)
	v_dual_add_f32 v26, v51, v26 :: v_dual_fmamk_f32 v51, v49, 0xbf788fa5, v77
	v_add_f32_e32 v52, v6, v16
	v_mul_f32_e32 v72, 0xbf29c268, v87
	v_mul_f32_e32 v58, 0x3df6dbef, v86
	s_delay_alu instid0(VALU_DEP_4) | instskip(SKIP_3) | instid1(VALU_DEP_3)
	v_add_f32_e32 v26, v27, v26
	v_dual_mul_f32 v78, 0x3eedf032, v88 :: v_dual_add_f32 v51, v24, v51
	v_fmamk_f32 v27, v47, 0x3f6f5d39, v57
	v_dual_fmamk_f32 v54, v52, 0xbf3f9e67, v79 :: v_dual_sub_f32 v91, v13, v11
	v_dual_fmamk_f32 v53, v50, 0x3f62ad3f, v78 :: v_dual_sub_f32 v90, v19, v5
	s_delay_alu instid0(VALU_DEP_3) | instskip(NEXT) | instid1(VALU_DEP_3)
	v_add_f32_e32 v26, v27, v26
	v_dual_sub_f32 v85, v15, v9 :: v_dual_mul_f32 v68, 0xbf6f5d39, v91
	s_delay_alu instid0(VALU_DEP_3) | instskip(SKIP_4) | instid1(VALU_DEP_4)
	v_add_f32_e32 v27, v53, v51
	v_sub_f32_e32 v51, v14, v8
	v_add_f32_e32 v53, v4, v18
	v_mul_f32_e32 v75, 0xbf3f9e67, v84
	v_mul_f32_e32 v73, 0x3f116cb1, v82
	v_dual_add_f32 v27, v54, v27 :: v_dual_fmamk_f32 v60, v51, 0xbf7e222b, v58
	v_dual_mul_f32 v67, 0x3f52af12, v90 :: v_dual_add_f32 v54, v10, v12
	s_delay_alu instid0(VALU_DEP_3) | instskip(SKIP_1) | instid1(VALU_DEP_3)
	v_dual_fmamk_f32 v69, v46, 0x3f52af12, v73 :: v_dual_add_f32 v20, v24, v20
	v_mul_f32_e32 v76, 0x3df6dbef, v83
	v_fmamk_f32 v55, v53, 0x3f116cb1, v67
	s_delay_alu instid0(VALU_DEP_4) | instskip(SKIP_2) | instid1(VALU_DEP_4)
	v_fmamk_f32 v65, v54, 0xbeb58ec6, v68
	v_dual_mul_f32 v74, 0x3f7e222b, v88 :: v_dual_add_f32 v21, v25, v21
	v_mul_f32_e32 v102, 0x3f6f5d39, v89
	v_dual_add_f32 v64, v55, v27 :: v_dual_add_f32 v55, v8, v14
	v_mul_f32_e32 v61, 0x3f7e222b, v85
	v_add_f32_e32 v27, v60, v26
	v_fmamk_f32 v26, v48, 0x3f29c268, v75
	s_delay_alu instid0(VALU_DEP_4) | instskip(SKIP_2) | instid1(VALU_DEP_4)
	v_add_f32_e32 v60, v65, v64
	v_fmamk_f32 v70, v50, 0x3df6dbef, v74
	v_fmamk_f32 v64, v55, 0x3df6dbef, v61
	v_dual_mul_f32 v106, 0xbf52af12, v91 :: v_dual_add_f32 v65, v25, v26
	v_mul_f32_e32 v108, 0xbf52af12, v87
	v_mul_f32_e32 v104, 0x3eedf032, v90
	s_delay_alu instid0(VALU_DEP_4) | instskip(SKIP_4) | instid1(VALU_DEP_4)
	v_add_f32_e32 v26, v64, v60
	v_fmamk_f32 v60, v49, 0xbf3f9e67, v72
	v_dual_mul_f32 v110, 0xbf29c268, v85 :: v_dual_fmac_f32 v75, 0xbf29c268, v48
	v_mul_f32_e32 v112, 0xbf788fa5, v82
	v_mul_f32_e32 v118, 0x3f62ad3f, v86
	v_dual_add_f32 v60, v24, v60 :: v_dual_add_f32 v21, v21, v23
	v_fmac_f32_e32 v63, 0xbf29c268, v46
	v_mul_f32_e32 v23, 0x3f62ad3f, v82
	v_add_f32_e32 v20, v20, v22
	s_delay_alu instid0(VALU_DEP_4) | instskip(SKIP_2) | instid1(VALU_DEP_4)
	v_add_f32_e32 v70, v70, v60
	v_dual_mul_f32 v60, 0x3e750f2a, v90 :: v_dual_add_f32 v17, v21, v17
	v_mul_f32_e32 v64, 0xbf788fa5, v80
	v_add_f32_e32 v16, v20, v16
	v_mul_f32_e32 v21, 0x3df6dbef, v80
	s_delay_alu instid0(VALU_DEP_4) | instskip(SKIP_4) | instid1(VALU_DEP_4)
	v_fmamk_f32 v95, v53, 0xbf788fa5, v60
	v_fmamk_f32 v66, v45, 0xbf7e222b, v76
	v_dual_fmamk_f32 v92, v44, 0xbe750f2a, v64 :: v_dual_add_f32 v17, v17, v19
	v_add_f32_e32 v16, v16, v18
	v_fmac_f32_e32 v76, 0x3f7e222b, v45
	v_dual_add_f32 v66, v66, v65 :: v_dual_fmac_f32 v73, 0xbf52af12, v46
	s_delay_alu instid0(VALU_DEP_4) | instskip(NEXT) | instid1(VALU_DEP_4)
	v_add_f32_e32 v13, v17, v13
	v_dual_mul_f32 v17, 0xbf788fa5, v81 :: v_dual_add_f32 v12, v16, v12
	s_delay_alu instid0(VALU_DEP_3) | instskip(SKIP_1) | instid1(VALU_DEP_4)
	v_dual_add_f32 v69, v69, v66 :: v_dual_mul_f32 v66, 0x3f62ad3f, v81
	v_mul_f32_e32 v71, 0xbeb58ec6, v84
	v_add_f32_e32 v15, v13, v15
	s_delay_alu instid0(VALU_DEP_3) | instskip(NEXT) | instid1(VALU_DEP_4)
	v_dual_mul_f32 v101, 0xbe750f2a, v88 :: v_dual_add_f32 v92, v92, v69
	v_fmamk_f32 v94, v47, 0xbeedf032, v66
	s_delay_alu instid0(VALU_DEP_4) | instskip(SKIP_2) | instid1(VALU_DEP_4)
	v_fmamk_f32 v96, v48, 0x3f6f5d39, v71
	v_mul_f32_e32 v65, 0xbf52af12, v89
	v_mul_f32_e32 v69, 0xbeb58ec6, v86
	v_dual_add_f32 v9, v15, v9 :: v_dual_add_f32 v92, v94, v92
	s_delay_alu instid0(VALU_DEP_3) | instskip(NEXT) | instid1(VALU_DEP_2)
	v_dual_add_f32 v96, v25, v96 :: v_dual_fmamk_f32 v93, v52, 0x3f116cb1, v65
	v_dual_fmamk_f32 v94, v51, 0x3f6f5d39, v69 :: v_dual_add_f32 v9, v9, v11
	v_mul_f32_e32 v16, 0x3f29c268, v88
	v_fmac_f32_e32 v71, 0xbf6f5d39, v48
	s_delay_alu instid0(VALU_DEP_4) | instskip(NEXT) | instid1(VALU_DEP_4)
	v_dual_add_f32 v93, v93, v70 :: v_dual_mul_f32 v70, 0xbf3f9e67, v83
	v_add_f32_e32 v13, v94, v92
	v_dual_add_f32 v5, v9, v5 :: v_dual_mul_f32 v94, 0x3df6dbef, v84
	s_delay_alu instid0(VALU_DEP_3)
	v_add_f32_e32 v93, v95, v93
	v_mul_f32_e32 v95, 0x3eedf032, v91
	v_fmamk_f32 v22, v45, 0xbf29c268, v70
	v_fmac_f32_e32 v66, 0x3eedf032, v47
	v_add_f32_e32 v5, v5, v7
	v_mul_f32_e32 v103, 0x3f62ad3f, v80
	v_fmamk_f32 v97, v54, 0x3f62ad3f, v95
	v_add_f32_e32 v22, v22, v96
	s_delay_alu instid0(VALU_DEP_4) | instskip(SKIP_1) | instid1(VALU_DEP_4)
	v_dual_fmamk_f32 v96, v46, 0xbeedf032, v23 :: v_dual_add_f32 v1, v5, v1
	v_mul_f32_e32 v100, 0xbf7e222b, v90
	v_dual_add_f32 v20, v97, v93 :: v_dual_mul_f32 v93, 0xbf6f5d39, v87
	s_delay_alu instid0(VALU_DEP_3) | instskip(SKIP_4) | instid1(VALU_DEP_4)
	v_add_f32_e32 v19, v96, v22
	v_fmamk_f32 v22, v44, 0x3f7e222b, v21
	v_dual_mul_f32 v97, 0x3eedf032, v89 :: v_dual_add_f32 v14, v12, v14
	v_mul_f32_e32 v18, 0xbf6f5d39, v85
	v_fmamk_f32 v12, v50, 0xbf3f9e67, v16
	v_dual_add_f32 v19, v22, v19 :: v_dual_fmamk_f32 v22, v47, 0xbe750f2a, v17
	s_delay_alu instid0(VALU_DEP_4) | instskip(SKIP_2) | instid1(VALU_DEP_4)
	v_add_f32_e32 v8, v14, v8
	v_fmamk_f32 v96, v49, 0xbeb58ec6, v93
	v_fmamk_f32 v14, v48, 0x3f7e222b, v94
	v_dual_fmamk_f32 v98, v55, 0xbeb58ec6, v18 :: v_dual_add_f32 v19, v22, v19
	s_delay_alu instid0(VALU_DEP_4)
	v_add_f32_e32 v8, v8, v10
	v_fmamk_f32 v99, v52, 0x3f62ad3f, v97
	v_mul_f32_e32 v107, 0xbf3f9e67, v86
	v_add_f32_e32 v1, v1, v3
	v_fmac_f32_e32 v21, 0xbf7e222b, v44
	v_add_f32_e32 v4, v8, v4
	v_add_f32_e32 v8, v25, v14
	v_mul_f32_e32 v92, 0x3e750f2a, v91
	v_dual_add_f32 v96, v24, v96 :: v_dual_fmamk_f32 v3, v50, 0xbf788fa5, v101
	s_delay_alu instid0(VALU_DEP_4) | instskip(NEXT) | instid1(VALU_DEP_2)
	v_dual_add_f32 v4, v4, v6 :: v_dual_mul_f32 v109, 0xbeb58ec6, v83
	v_dual_fmamk_f32 v11, v54, 0xbf788fa5, v92 :: v_dual_add_f32 v96, v12, v96
	v_add_f32_e32 v12, v98, v20
	v_mul_f32_e32 v98, 0xbf7e222b, v87
	s_delay_alu instid0(VALU_DEP_4)
	v_add_f32_e32 v0, v4, v0
	v_fmamk_f32 v22, v53, 0x3df6dbef, v100
	v_mul_f32_e32 v111, 0xbf6f5d39, v88
	v_mul_f32_e32 v105, 0x3f116cb1, v81
	v_dual_fmamk_f32 v5, v49, 0x3df6dbef, v98 :: v_dual_add_f32 v20, v99, v96
	v_add_f32_e32 v0, v0, v2
	v_mul_f32_e32 v96, 0x3f116cb1, v86
	s_delay_alu instid0(VALU_DEP_3) | instskip(NEXT) | instid1(VALU_DEP_4)
	v_dual_fmamk_f32 v9, v53, 0x3f62ad3f, v104 :: v_dual_add_f32 v2, v24, v5
	v_add_f32_e32 v10, v22, v20
	v_mul_f32_e32 v20, 0xbf788fa5, v83
	s_delay_alu instid0(VALU_DEP_4) | instskip(SKIP_2) | instid1(VALU_DEP_4)
	v_fmamk_f32 v4, v51, 0xbf52af12, v96
	v_mul_f32_e32 v22, 0x3f52af12, v85
	v_dual_add_f32 v2, v3, v2 :: v_dual_fmamk_f32 v3, v52, 0xbeb58ec6, v102
	v_dual_fmamk_f32 v6, v45, 0x3e750f2a, v20 :: v_dual_add_f32 v7, v11, v10
	v_mul_f32_e32 v113, 0xbe750f2a, v89
	s_delay_alu instid0(VALU_DEP_3)
	v_dual_mul_f32 v83, 0x3f116cb1, v83 :: v_dual_add_f32 v2, v3, v2
	v_add_f32_e32 v3, v4, v19
	v_mul_f32_e32 v99, 0xbeb58ec6, v82
	v_mul_f32_e32 v115, 0x3f29c268, v90
	v_mul_f32_e32 v114, 0xbf3f9e67, v80
	v_dual_add_f32 v4, v9, v2 :: v_dual_fmamk_f32 v9, v54, 0x3f116cb1, v106
	v_dual_add_f32 v5, v6, v8 :: v_dual_fmamk_f32 v8, v55, 0x3f116cb1, v22
	v_mul_f32_e32 v117, 0x3f7e222b, v91
	s_delay_alu instid0(VALU_DEP_3) | instskip(NEXT) | instid1(VALU_DEP_3)
	v_dual_mul_f32 v91, 0xbf29c268, v91 :: v_dual_add_f32 v4, v9, v4
	v_dual_fmamk_f32 v9, v50, 0xbeb58ec6, v111 :: v_dual_add_f32 v2, v8, v7
	v_fmamk_f32 v7, v49, 0x3f116cb1, v108
	v_fmamk_f32 v10, v55, 0xbf3f9e67, v110
	v_mul_f32_e32 v88, 0xbf52af12, v88
	v_mul_f32_e32 v19, 0x3f116cb1, v84
	;; [unrolled: 1-line block ×3, first 2 shown]
	s_delay_alu instid0(VALU_DEP_4) | instskip(SKIP_2) | instid1(VALU_DEP_4)
	v_dual_add_f32 v7, v24, v7 :: v_dual_add_f32 v4, v10, v4
	v_mul_f32_e32 v89, 0xbf7e222b, v89
	v_fmamk_f32 v14, v50, 0x3f116cb1, v88
	v_fmamk_f32 v10, v49, 0x3f62ad3f, v87
	s_delay_alu instid0(VALU_DEP_4) | instskip(SKIP_2) | instid1(VALU_DEP_4)
	v_add_f32_e32 v7, v9, v7
	v_fmamk_f32 v9, v52, 0xbf788fa5, v113
	v_dual_mul_f32 v90, 0xbf6f5d39, v90 :: v_dual_fmac_f32 v57, 0xbf6f5d39, v47
	v_dual_add_f32 v10, v24, v10 :: v_dual_fmac_f32 v59, 0xbe750f2a, v48
	s_delay_alu instid0(VALU_DEP_3) | instskip(SKIP_2) | instid1(VALU_DEP_4)
	v_add_f32_e32 v7, v9, v7
	v_fmamk_f32 v9, v53, 0xbf3f9e67, v115
	v_fmamk_f32 v6, v46, 0xbf6f5d39, v99
	v_add_f32_e32 v10, v14, v10
	v_fmamk_f32 v14, v52, 0x3df6dbef, v89
	s_delay_alu instid0(VALU_DEP_4) | instskip(NEXT) | instid1(VALU_DEP_4)
	v_dual_mul_f32 v86, 0xbf788fa5, v86 :: v_dual_add_f32 v7, v9, v7
	v_dual_add_f32 v5, v6, v5 :: v_dual_fmamk_f32 v6, v44, 0xbeedf032, v103
	v_fmac_f32_e32 v94, 0xbf7e222b, v48
	v_fmac_f32_e32 v62, 0x3eedf032, v45
	v_mul_f32_e32 v84, 0x3f62ad3f, v84
	s_delay_alu instid0(VALU_DEP_4)
	v_dual_fmac_f32 v96, 0x3f52af12, v51 :: v_dual_add_f32 v5, v6, v5
	v_fmamk_f32 v6, v47, 0x3f52af12, v105
	v_fmamk_f32 v9, v54, 0x3df6dbef, v117
	v_fmac_f32_e32 v69, 0xbf6f5d39, v51
	v_fmac_f32_e32 v56, 0x3f52af12, v44
	;; [unrolled: 1-line block ×3, first 2 shown]
	v_dual_add_f32 v5, v6, v5 :: v_dual_fmamk_f32 v6, v51, 0x3f29c268, v107
	v_fmac_f32_e32 v107, 0xbf29c268, v51
	v_fmac_f32_e32 v58, 0x3f7e222b, v51
	v_mul_f32_e32 v80, 0xbeb58ec6, v80
	s_delay_alu instid0(VALU_DEP_4)
	v_dual_fmamk_f32 v8, v45, 0x3f6f5d39, v109 :: v_dual_add_f32 v5, v6, v5
	v_fmamk_f32 v6, v48, 0x3f52af12, v19
	v_fmac_f32_e32 v109, 0xbf6f5d39, v45
	v_fmac_f32_e32 v64, 0x3e750f2a, v44
	v_add_f32_e32 v10, v14, v10
	v_fmamk_f32 v14, v53, 0xbeb58ec6, v90
	v_dual_add_f32 v6, v25, v6 :: v_dual_mul_f32 v119, 0x3eedf032, v85
	v_fmamk_f32 v11, v45, 0x3f52af12, v83
	v_mul_f32_e32 v82, 0x3df6dbef, v82
	s_delay_alu instid0(VALU_DEP_4) | instskip(NEXT) | instid1(VALU_DEP_4)
	v_add_f32_e32 v10, v14, v10
	v_add_f32_e32 v6, v8, v6
	v_fmamk_f32 v8, v46, 0x3e750f2a, v112
	v_fmamk_f32 v14, v54, 0xbf3f9e67, v91
	;; [unrolled: 1-line block ×3, first 2 shown]
	v_fma_f32 v16, 0xbf3f9e67, v50, -v16
	v_fma_f32 v18, 0xbeb58ec6, v55, -v18
	v_add_f32_e32 v6, v8, v6
	v_fmamk_f32 v8, v44, 0xbf29c268, v114
	v_add_f32_e32 v10, v14, v10
	v_fmamk_f32 v14, v51, 0x3e750f2a, v86
	v_mul_f32_e32 v116, 0x3df6dbef, v81
	s_delay_alu instid0(VALU_DEP_4) | instskip(SKIP_2) | instid1(VALU_DEP_4)
	v_dual_mul_f32 v81, 0xbf3f9e67, v81 :: v_dual_add_f32 v6, v8, v6
	v_fmac_f32_e32 v114, 0x3f29c268, v44
	v_fmac_f32_e32 v23, 0x3eedf032, v46
	v_fmamk_f32 v8, v47, 0xbf7e222b, v116
	v_fmac_f32_e32 v19, 0xbf52af12, v48
	v_fmac_f32_e32 v103, 0x3eedf032, v44
	;; [unrolled: 1-line block ×3, first 2 shown]
	s_delay_alu instid0(VALU_DEP_4)
	v_dual_fmac_f32 v83, 0xbf52af12, v45 :: v_dual_add_f32 v6, v8, v6
	v_dual_add_f32 v8, v9, v7 :: v_dual_fmamk_f32 v9, v48, 0x3eedf032, v84
	v_fmamk_f32 v7, v51, 0xbeedf032, v118
	v_add_f32_e32 v19, v25, v19
	v_fmac_f32_e32 v118, 0x3eedf032, v51
	v_fmac_f32_e32 v99, 0x3f6f5d39, v46
	v_add_f32_e32 v9, v25, v9
	s_delay_alu instid0(VALU_DEP_1) | instskip(SKIP_2) | instid1(VALU_DEP_2)
	v_add_f32_e32 v9, v11, v9
	v_fmamk_f32 v11, v46, 0x3f7e222b, v82
	v_add_f32_e32 v7, v7, v6
	v_add_f32_e32 v9, v11, v9
	v_fmamk_f32 v11, v44, 0x3f6f5d39, v80
	s_delay_alu instid0(VALU_DEP_1)
	v_add_f32_e32 v9, v11, v9
	v_fmamk_f32 v11, v47, 0x3f29c268, v81
	v_fmac_f32_e32 v81, 0xbf29c268, v47
	v_fmac_f32_e32 v70, 0x3f29c268, v45
	v_add_f32_e32 v6, v15, v8
	v_fmac_f32_e32 v112, 0xbe750f2a, v46
	v_add_f32_e32 v8, v11, v9
	v_fma_f32 v9, 0xbf788fa5, v49, -v77
	v_add_f32_e32 v11, v25, v59
	v_mul_f32_e32 v59, 0xbe750f2a, v85
	v_fma_f32 v77, 0x3f62ad3f, v50, -v78
	s_delay_alu instid0(VALU_DEP_4) | instskip(NEXT) | instid1(VALU_DEP_3)
	v_add_f32_e32 v15, v24, v9
	v_dual_add_f32 v9, v14, v8 :: v_dual_fmamk_f32 v8, v55, 0xbf788fa5, v59
	v_add_f32_e32 v11, v62, v11
	v_fmac_f32_e32 v116, 0x3f7e222b, v47
	s_delay_alu instid0(VALU_DEP_4) | instskip(SKIP_1) | instid1(VALU_DEP_4)
	v_add_f32_e32 v14, v77, v15
	v_fma_f32 v15, 0xbf3f9e67, v52, -v79
	v_dual_add_f32 v8, v8, v10 :: v_dual_add_f32 v11, v63, v11
	v_fmac_f32_e32 v84, 0xbeedf032, v48
	s_delay_alu instid0(VALU_DEP_3) | instskip(SKIP_1) | instid1(VALU_DEP_4)
	v_add_f32_e32 v10, v15, v14
	v_fma_f32 v14, 0x3f116cb1, v53, -v67
	v_add_f32_e32 v11, v56, v11
	v_fma_f32 v56, 0x3df6dbef, v55, -v61
	s_delay_alu instid0(VALU_DEP_3) | instskip(SKIP_1) | instid1(VALU_DEP_4)
	v_dual_add_f32 v15, v25, v75 :: v_dual_add_f32 v10, v14, v10
	v_fma_f32 v14, 0xbeb58ec6, v54, -v68
	v_add_f32_e32 v11, v57, v11
	v_fma_f32 v57, 0x3df6dbef, v50, -v74
	v_fmac_f32_e32 v82, 0xbf7e222b, v46
	s_delay_alu instid0(VALU_DEP_4)
	v_add_f32_e32 v10, v14, v10
	v_fma_f32 v14, 0xbf3f9e67, v49, -v72
	v_add_f32_e32 v11, v58, v11
	v_fma_f32 v58, 0xbf788fa5, v53, -v60
	v_fmac_f32_e32 v80, 0xbf6f5d39, v44
	v_add_f32_e32 v10, v56, v10
	v_add_f32_e32 v14, v24, v14
	v_fma_f32 v56, 0x3f116cb1, v52, -v65
	v_mul_i32_i24_e32 v44, 0x68, v42
	s_delay_alu instid0(VALU_DEP_3) | instskip(SKIP_1) | instid1(VALU_DEP_3)
	v_add_f32_e32 v14, v57, v14
	v_add_f32_e32 v57, v25, v71
	v_add3_u32 v43, 0, v44, v43
	s_delay_alu instid0(VALU_DEP_2) | instskip(SKIP_1) | instid1(VALU_DEP_2)
	v_dual_add_f32 v14, v56, v14 :: v_dual_add_f32 v57, v70, v57
	v_fma_f32 v56, 0xbeb58ec6, v49, -v93
	v_add_f32_e32 v14, v58, v14
	v_fma_f32 v58, 0x3f62ad3f, v54, -v95
	s_delay_alu instid0(VALU_DEP_3) | instskip(NEXT) | instid1(VALU_DEP_1)
	v_dual_add_f32 v23, v23, v57 :: v_dual_add_f32 v56, v24, v56
	v_dual_add_f32 v14, v58, v14 :: v_dual_add_f32 v21, v21, v23
	s_delay_alu instid0(VALU_DEP_2) | instskip(SKIP_2) | instid1(VALU_DEP_4)
	v_add_f32_e32 v16, v16, v56
	v_fma_f32 v56, 0x3f62ad3f, v52, -v97
	v_fma_f32 v23, 0x3df6dbef, v53, -v100
	v_dual_add_f32 v14, v18, v14 :: v_dual_add_f32 v17, v17, v21
	v_add_f32_e32 v21, v25, v94
	v_add_f32_e32 v25, v25, v84
	;; [unrolled: 1-line block ×3, first 2 shown]
	v_fma_f32 v18, 0xbf788fa5, v54, -v92
	v_fmac_f32_e32 v86, 0xbe750f2a, v51
	v_fmac_f32_e32 v20, 0xbe750f2a, v45
	v_add_f32_e32 v25, v83, v25
	v_fma_f32 v56, 0xbeb58ec6, v50, -v111
	v_fma_f32 v45, 0xbf788fa5, v55, -v59
	s_delay_alu instid0(VALU_DEP_4) | instskip(NEXT) | instid1(VALU_DEP_4)
	v_add_f32_e32 v20, v20, v21
	v_dual_add_f32 v25, v82, v25 :: v_dual_add_f32 v16, v23, v16
	v_fma_f32 v23, 0x3df6dbef, v49, -v98
	s_delay_alu instid0(VALU_DEP_2) | instskip(SKIP_1) | instid1(VALU_DEP_3)
	v_add_f32_e32 v16, v18, v16
	v_fma_f32 v18, 0x3f116cb1, v55, -v22
	v_add_f32_e32 v21, v24, v23
	v_fma_f32 v22, 0xbf788fa5, v50, -v101
	s_delay_alu instid0(VALU_DEP_3) | instskip(SKIP_1) | instid1(VALU_DEP_3)
	v_dual_add_f32 v15, v76, v15 :: v_dual_add_f32 v16, v18, v16
	v_add_f32_e32 v18, v99, v20
	v_add_f32_e32 v20, v22, v21
	v_fma_f32 v21, 0xbeb58ec6, v52, -v102
	s_delay_alu instid0(VALU_DEP_3) | instskip(SKIP_1) | instid1(VALU_DEP_3)
	v_dual_add_f32 v15, v73, v15 :: v_dual_add_f32 v18, v103, v18
	v_add_f32_e32 v19, v109, v19
	v_add_f32_e32 v20, v21, v20
	v_fma_f32 v21, 0x3f62ad3f, v53, -v104
	s_delay_alu instid0(VALU_DEP_4) | instskip(NEXT) | instid1(VALU_DEP_4)
	v_dual_add_f32 v15, v64, v15 :: v_dual_add_f32 v18, v105, v18
	v_add_f32_e32 v22, v112, v19
	s_delay_alu instid0(VALU_DEP_3) | instskip(SKIP_1) | instid1(VALU_DEP_4)
	v_add_f32_e32 v20, v21, v20
	v_fma_f32 v21, 0x3f116cb1, v54, -v106
	v_add_f32_e32 v19, v107, v18
	v_fma_f32 v18, 0x3f116cb1, v49, -v108
	v_add_f32_e32 v22, v114, v22
	s_delay_alu instid0(VALU_DEP_4) | instskip(SKIP_1) | instid1(VALU_DEP_4)
	v_add_f32_e32 v20, v21, v20
	v_fma_f32 v21, 0xbf3f9e67, v55, -v110
	v_add_f32_e32 v23, v24, v18
	s_delay_alu instid0(VALU_DEP_2) | instskip(SKIP_2) | instid1(VALU_DEP_4)
	v_dual_add_f32 v15, v66, v15 :: v_dual_add_f32 v18, v21, v20
	v_fma_f32 v21, 0x3f62ad3f, v49, -v87
	v_add_f32_e32 v20, v116, v22
	v_add_f32_e32 v22, v56, v23
	v_fma_f32 v23, 0xbf788fa5, v52, -v113
	v_add_f32_e32 v15, v69, v15
	v_add_f32_e32 v21, v24, v21
	v_fma_f32 v24, 0x3f116cb1, v50, -v88
	s_delay_alu instid0(VALU_DEP_4) | instskip(SKIP_1) | instid1(VALU_DEP_3)
	v_add_f32_e32 v22, v23, v22
	v_fma_f32 v23, 0xbf3f9e67, v53, -v115
	v_add_f32_e32 v21, v24, v21
	v_fma_f32 v24, 0x3df6dbef, v52, -v89
	s_delay_alu instid0(VALU_DEP_3) | instskip(SKIP_1) | instid1(VALU_DEP_3)
	v_add_f32_e32 v22, v23, v22
	v_fma_f32 v23, 0x3df6dbef, v54, -v117
	v_add_f32_e32 v21, v24, v21
	v_fma_f32 v24, 0xbeb58ec6, v53, -v90
	s_delay_alu instid0(VALU_DEP_3) | instskip(SKIP_2) | instid1(VALU_DEP_4)
	v_dual_add_f32 v17, v96, v17 :: v_dual_add_f32 v22, v23, v22
	v_add_f32_e32 v23, v80, v25
	v_fma_f32 v25, 0x3f62ad3f, v55, -v119
	v_add_f32_e32 v21, v24, v21
	v_fma_f32 v24, 0xbf3f9e67, v54, -v91
	s_delay_alu instid0(VALU_DEP_1) | instskip(NEXT) | instid1(VALU_DEP_4)
	v_dual_add_f32 v24, v24, v21 :: v_dual_add_f32 v23, v81, v23
	v_dual_add_f32 v21, v118, v20 :: v_dual_add_f32 v20, v25, v22
	s_delay_alu instid0(VALU_DEP_2)
	v_dual_add_f32 v22, v45, v24 :: v_dual_add_f32 v23, v86, v23
	ds_store_2addr_b64 v43, v[0:1], v[8:9] offset1:1
	ds_store_2addr_b64 v43, v[6:7], v[4:5] offset0:2 offset1:3
	ds_store_2addr_b64 v43, v[2:3], v[12:13] offset0:4 offset1:5
	;; [unrolled: 1-line block ×5, first 2 shown]
	ds_store_b64 v43, v[22:23] offset:96
.LBB0_18:
	s_wait_alu 0xfffe
	s_or_b32 exec_lo, exec_lo, s6
	v_mul_i32_i24_e32 v0, 7, v42
	v_dual_mov_b32 v1, 0 :: v_dual_add_nc_u32 v22, s4, v41
	global_wb scope:SCOPE_SE
	s_wait_dscnt 0x0
	s_barrier_signal -1
	s_barrier_wait -1
	v_lshlrev_b64_e32 v[0:1], 3, v[0:1]
	global_inv scope:SCOPE_SE
	v_mul_lo_u32 v42, v22, v42
	v_mul_lo_u32 v66, v22, 13
	s_add_co_i32 s4, 0, 0x3400
	v_add_co_u32 v12, vcc_lo, s16, v0
	s_wait_alu 0xfffd
	v_add_co_ci_u32_e32 v13, vcc_lo, s17, v1, vcc_lo
	s_delay_alu instid0(VALU_DEP_4)
	v_lshrrev_b32_e32 v44, 2, v42
	v_lshrrev_b32_e32 v45, 7, v42
	s_clause 0x3
	global_load_b128 v[0:3], v[12:13], off
	global_load_b128 v[4:7], v[12:13], off offset:16
	global_load_b128 v[8:11], v[12:13], off offset:32
	global_load_b64 v[20:21], v[12:13], off offset:48
	v_and_b32_e32 v43, 31, v42
	v_add_nc_u32_e32 v42, v42, v66
	v_and_b32_e32 v44, 0xf8, v44
	v_and_b32_e32 v45, 0xf8, v45
	ds_load_2addr_b64 v[12:15], v39 offset0:13 offset1:26
	ds_load_2addr_b64 v[16:19], v39 offset0:39 offset1:52
	v_lshl_add_u32 v43, v43, 3, 0
	v_and_b32_e32 v46, 31, v42
	v_lshrrev_b32_e32 v47, 2, v42
	v_lshrrev_b32_e32 v48, 7, v42
	v_add_nc_u32_e32 v42, v42, v66
	s_wait_alu 0xfffe
	v_add_nc_u32_e32 v44, s4, v44
	v_add_nc_u32_e32 v49, s4, v45
	v_lshl_add_u32 v50, v46, 3, 0
	ds_load_b64 v[22:23], v40
	ds_load_b64 v[24:25], v39 offset:520
	ds_load_2addr_b32 v[26:27], v39 offset0:156 offset1:157
	ds_load_b64 v[40:41], v39 offset:728
	v_and_b32_e32 v51, 0xf8, v47
	v_and_b32_e32 v52, 0xf8, v48
	;; [unrolled: 1-line block ×3, first 2 shown]
	v_lshrrev_b32_e32 v54, 2, v42
	v_lshrrev_b32_e32 v55, 7, v42
	v_add_nc_u32_e32 v56, v42, v66
	ds_load_b64 v[42:43], v43 offset:13312
	ds_load_b64 v[44:45], v44 offset:256
	;; [unrolled: 1-line block ×4, first 2 shown]
	v_lshl_add_u32 v57, v53, 3, 0
	v_add_nc_u32_e32 v52, s4, v52
	v_and_b32_e32 v53, 0xf8, v55
	v_lshrrev_b32_e32 v55, 2, v56
	v_lshrrev_b32_e32 v58, 7, v56
	s_delay_alu instid0(VALU_DEP_3) | instskip(NEXT) | instid1(VALU_DEP_3)
	v_add_nc_u32_e32 v60, s4, v53
	v_and_b32_e32 v62, 0xf8, v55
	s_delay_alu instid0(VALU_DEP_3) | instskip(NEXT) | instid1(VALU_DEP_2)
	v_and_b32_e32 v58, 0xf8, v58
	v_add_nc_u32_e32 v62, s4, v62
	s_delay_alu instid0(VALU_DEP_2) | instskip(SKIP_3) | instid1(VALU_DEP_2)
	v_add_nc_u32_e32 v68, s4, v58
	s_wait_dscnt 0x2
	v_mul_f32_e32 v80, v43, v45
	v_dual_mul_f32 v81, v42, v45 :: v_dual_add_nc_u32 v50, s4, v51
	v_fma_f32 v80, v42, v44, -v80
	s_wait_dscnt 0x1
	s_delay_alu instid0(VALU_DEP_1) | instskip(SKIP_2) | instid1(VALU_DEP_3)
	v_dual_fmac_f32 v81, v43, v44 :: v_dual_mul_f32 v84, v80, v47
	v_and_b32_e32 v51, 0xf8, v54
	v_and_b32_e32 v54, 31, v56
	v_dual_mul_f32 v83, v81, v47 :: v_dual_add_nc_u32 v56, v56, v66
	s_delay_alu instid0(VALU_DEP_3) | instskip(NEXT) | instid1(VALU_DEP_3)
	v_dual_fmac_f32 v84, v46, v81 :: v_dual_add_nc_u32 v59, s4, v51
	v_lshl_add_u32 v61, v54, 3, 0
	s_delay_alu instid0(VALU_DEP_3)
	v_and_b32_e32 v63, 31, v56
	v_lshrrev_b32_e32 v64, 2, v56
	v_lshrrev_b32_e32 v65, 7, v56
	v_add_nc_u32_e32 v67, v56, v66
	ds_load_b64 v[50:51], v50 offset:256
	ds_load_b64 v[52:53], v52 offset:512
	;; [unrolled: 1-line block ×4, first 2 shown]
	v_lshl_add_u32 v69, v63, 3, 0
	v_and_b32_e32 v70, 0xf8, v64
	v_and_b32_e32 v72, 31, v67
	v_lshrrev_b32_e32 v73, 2, v67
	v_lshrrev_b32_e32 v74, 7, v67
	s_delay_alu instid0(VALU_DEP_3) | instskip(NEXT) | instid1(VALU_DEP_3)
	v_lshl_add_u32 v72, v72, 3, 0
	v_and_b32_e32 v75, 0xf8, v73
	s_delay_alu instid0(VALU_DEP_3) | instskip(NEXT) | instid1(VALU_DEP_1)
	v_and_b32_e32 v74, 0xf8, v74
	v_add_nc_u32_e32 v74, s4, v74
	s_wait_dscnt 0x3
	v_mul_f32_e32 v42, v49, v51
	s_wait_dscnt 0x0
	v_dual_mul_f32 v51, v48, v51 :: v_dual_mul_f32 v86, v55, v57
	v_mul_f32_e32 v57, v54, v57
	s_delay_alu instid0(VALU_DEP_3) | instskip(NEXT) | instid1(VALU_DEP_3)
	v_fma_f32 v85, v48, v50, -v42
	v_fmac_f32_e32 v51, v49, v50
	v_and_b32_e32 v71, 0xf8, v65
	ds_load_b64 v[58:59], v60 offset:512
	ds_load_b64 v[60:61], v61 offset:13312
	;; [unrolled: 1-line block ×4, first 2 shown]
	v_fmac_f32_e32 v57, v55, v56
	v_add_nc_u32_e32 v67, v67, v66
	v_add_nc_u32_e32 v68, s4, v70
	;; [unrolled: 1-line block ×4, first 2 shown]
	v_fma_f32 v81, v54, v56, -v86
	v_and_b32_e32 v76, 31, v67
	v_lshrrev_b32_e32 v77, 2, v67
	v_lshrrev_b32_e32 v78, 7, v67
	v_add_nc_u32_e32 v79, v67, v66
	ds_load_b64 v[66:67], v69 offset:13312
	ds_load_b64 v[68:69], v68 offset:256
	;; [unrolled: 1-line block ×4, first 2 shown]
	v_lshl_add_u32 v75, v76, 3, 0
	v_and_b32_e32 v76, 0xf8, v77
	v_lshrrev_b32_e32 v82, 2, v79
	s_delay_alu instid0(VALU_DEP_2)
	v_add_nc_u32_e32 v76, s4, v76
	ds_load_b64 v[42:43], v45 offset:256
	ds_load_b64 v[44:45], v74 offset:512
	;; [unrolled: 1-line block ×4, first 2 shown]
	v_and_b32_e32 v77, 0xf8, v78
	v_and_b32_e32 v78, 31, v79
	v_lshrrev_b32_e32 v79, 7, v79
	v_and_b32_e32 v82, 0xf8, v82
	s_delay_alu instid0(VALU_DEP_2) | instskip(NEXT) | instid1(VALU_DEP_2)
	v_and_b32_e32 v79, 0xf8, v79
	v_add_nc_u32_e32 v74, s4, v82
	s_wait_dscnt 0x9
	v_mul_f32_e32 v82, v61, v63
	v_mul_f32_e32 v63, v60, v63
	v_add_nc_u32_e32 v76, s4, v79
	v_fma_f32 v79, v46, v80, -v83
	v_mul_f32_e32 v46, v51, v53
	v_mul_f32_e32 v80, v85, v53
	v_fmac_f32_e32 v63, v61, v62
	s_wait_dscnt 0x6
	v_mul_f32_e32 v61, v66, v69
	v_fma_f32 v46, v52, v85, -v46
	v_fmac_f32_e32 v80, v52, v51
	v_mul_f32_e32 v52, v81, v59
	v_mul_f32_e32 v51, v57, v59
	v_fma_f32 v59, v60, v62, -v82
	v_mul_f32_e32 v60, v67, v69
	s_delay_alu instid0(VALU_DEP_4)
	v_dual_fmac_f32 v61, v67, v68 :: v_dual_fmac_f32 v52, v58, v57
	s_wait_dscnt 0x3
	v_dual_mul_f32 v57, v63, v65 :: v_dual_mul_f32 v62, v73, v43
	v_mul_f32_e32 v43, v72, v43
	v_fma_f32 v51, v58, v81, -v51
	v_mul_f32_e32 v58, v59, v65
	v_fma_f32 v60, v66, v68, -v60
	v_fma_f32 v57, v64, v59, -v57
	v_mul_f32_e32 v59, v61, v71
	v_fma_f32 v62, v72, v42, -v62
	v_dual_fmac_f32 v43, v73, v42 :: v_dual_fmac_f32 v58, v64, v63
	v_mul_f32_e32 v63, v60, v71
	s_wait_dscnt 0x0
	v_mul_f32_e32 v42, v48, v50
	v_mul_f32_e32 v50, v47, v50
	v_fma_f32 v59, v70, v60, -v59
	v_mul_f32_e32 v60, v43, v45
	v_add_nc_u32_e32 v77, s4, v77
	v_mul_f32_e32 v45, v62, v45
	v_fmac_f32_e32 v50, v48, v49
	v_fmac_f32_e32 v63, v70, v61
	v_fma_f32 v48, v44, v62, -v60
	v_fma_f32 v42, v47, v49, -v42
	s_wait_loadcnt 0x3
	v_dual_fmac_f32 v45, v44, v43 :: v_dual_mul_f32 v44, v1, v13
	v_mul_f32_e32 v1, v1, v12
	v_lshl_add_u32 v78, v78, 3, 0
	ds_load_b64 v[53:54], v77 offset:512
	ds_load_b64 v[55:56], v78 offset:13312
	;; [unrolled: 1-line block ×4, first 2 shown]
	global_wb scope:SCOPE_SE
	s_wait_loadcnt_dscnt 0x0
	s_barrier_signal -1
	s_barrier_wait -1
	global_inv scope:SCOPE_SE
	v_mul_f32_e32 v49, v50, v54
	v_dual_mul_f32 v54, v42, v54 :: v_dual_mul_f32 v61, v55, v75
	v_mul_f32_e32 v64, v56, v75
	s_delay_alu instid0(VALU_DEP_3) | instskip(NEXT) | instid1(VALU_DEP_3)
	v_fma_f32 v42, v53, v42, -v49
	v_fmac_f32_e32 v54, v53, v50
	s_delay_alu instid0(VALU_DEP_4) | instskip(SKIP_3) | instid1(VALU_DEP_4)
	v_dual_fmac_f32 v61, v56, v74 :: v_dual_mul_f32 v50, v7, v19
	v_mul_f32_e32 v7, v7, v18
	v_fma_f32 v47, v55, v74, -v64
	v_mul_f32_e32 v49, v5, v17
	v_mul_f32_e32 v55, v61, v77
	;; [unrolled: 1-line block ×6, first 2 shown]
	v_fma_f32 v43, v76, v47, -v55
	v_mul_f32_e32 v47, v3, v15
	v_fmac_f32_e32 v53, v8, v24
	v_mul_f32_e32 v3, v3, v14
	v_mul_f32_e32 v55, v27, v11
	;; [unrolled: 1-line block ×3, first 2 shown]
	v_dual_fmac_f32 v47, v2, v14 :: v_dual_fmac_f32 v56, v76, v61
	v_fmac_f32_e32 v49, v4, v16
	s_delay_alu instid0(VALU_DEP_4)
	v_dual_fmac_f32 v44, v0, v12 :: v_dual_fmac_f32 v55, v10, v26
	v_fma_f32 v0, v0, v13, -v1
	v_fma_f32 v1, v2, v15, -v3
	;; [unrolled: 1-line block ×3, first 2 shown]
	v_mul_f32_e32 v9, v9, v24
	v_mul_f32_e32 v21, v40, v21
	v_fma_f32 v2, v4, v17, -v5
	s_delay_alu instid0(VALU_DEP_4) | instskip(SKIP_3) | instid1(VALU_DEP_4)
	v_dual_fmac_f32 v50, v6, v18 :: v_dual_sub_f32 v3, v23, v3
	v_fma_f32 v5, v27, v10, -v11
	v_fmac_f32_e32 v60, v40, v20
	v_fma_f32 v4, v8, v25, -v9
	v_sub_f32_e32 v7, v22, v50
	v_fma_f32 v6, v41, v20, -v21
	v_dual_sub_f32 v8, v47, v55 :: v_dual_sub_f32 v5, v1, v5
	v_dual_sub_f32 v9, v44, v53 :: v_dual_sub_f32 v10, v49, v60
	v_sub_f32_e32 v4, v0, v4
	v_fma_f32 v11, v22, 2.0, -v7
	v_fma_f32 v12, v23, 2.0, -v3
	;; [unrolled: 1-line block ×3, first 2 shown]
	v_sub_f32_e32 v6, v2, v6
	v_fma_f32 v1, v1, 2.0, -v5
	v_fma_f32 v14, v44, 2.0, -v9
	;; [unrolled: 1-line block ×3, first 2 shown]
	v_sub_f32_e32 v13, v11, v13
	v_fma_f32 v2, v2, 2.0, -v6
	v_add_f32_e32 v5, v7, v5
	v_fma_f32 v0, v0, 2.0, -v4
	v_dual_sub_f32 v8, v3, v8 :: v_dual_sub_f32 v1, v12, v1
	v_dual_add_f32 v6, v9, v6 :: v_dual_sub_f32 v15, v14, v15
	v_sub_f32_e32 v10, v4, v10
	v_fma_f32 v7, v7, 2.0, -v5
	s_delay_alu instid0(VALU_DEP_4) | instskip(NEXT) | instid1(VALU_DEP_4)
	v_fma_f32 v3, v3, 2.0, -v8
	v_fma_f32 v9, v9, 2.0, -v6
	;; [unrolled: 1-line block ×3, first 2 shown]
	v_dual_sub_f32 v15, v1, v15 :: v_dual_sub_f32 v2, v0, v2
	v_fmamk_f32 v17, v10, 0x3f3504f3, v8
	v_fma_f32 v4, v4, 2.0, -v10
	v_fma_f32 v11, v11, 2.0, -v13
	v_fmamk_f32 v16, v6, 0x3f3504f3, v5
	v_add_f32_e32 v20, v13, v2
	v_fmamk_f32 v18, v9, 0xbf3504f3, v7
	v_fmamk_f32 v19, v4, 0xbf3504f3, v3
	v_fma_f32 v12, v12, 2.0, -v1
	v_fma_f32 v0, v0, 2.0, -v2
	v_fmac_f32_e32 v17, 0xbf3504f3, v6
	v_sub_f32_e32 v21, v11, v14
	v_fmac_f32_e32 v19, 0xbf3504f3, v9
	v_fma_f32 v9, v13, 2.0, -v20
	v_fmac_f32_e32 v16, 0x3f3504f3, v10
	v_fma_f32 v13, v1, 2.0, -v15
	v_dual_mul_f32 v1, v20, v54 :: v_dual_fmac_f32 v18, 0x3f3504f3, v4
	v_sub_f32_e32 v22, v12, v0
	v_fma_f32 v24, v8, 2.0, -v17
	v_mul_f32_e32 v0, v15, v54
	v_mul_f32_e32 v2, v17, v56
	v_fma_f32 v27, v7, 2.0, -v18
	v_mul_f32_e32 v7, v9, v52
	v_fma_f32 v23, v5, 2.0, -v16
	v_fma_f32 v25, v11, 2.0, -v21
	v_fma_f32 v26, v12, 2.0, -v22
	v_fma_f32 v40, v3, 2.0, -v19
	v_dual_mul_f32 v5, v16, v56 :: v_dual_mul_f32 v8, v22, v63
	v_mul_f32_e32 v4, v13, v52
	v_dual_mul_f32 v6, v24, v58 :: v_dual_mul_f32 v41, v21, v63
	v_mul_f32_e32 v11, v23, v58
	v_mul_f32_e32 v10, v19, v45
	;; [unrolled: 1-line block ×3, first 2 shown]
	v_fma_f32 v1, v15, v42, -v1
	v_dual_mul_f32 v15, v25, v84 :: v_dual_fmac_f32 v2, v16, v43
	v_mul_f32_e32 v12, v26, v84
	v_mul_f32_e32 v14, v40, v80
	;; [unrolled: 1-line block ×3, first 2 shown]
	v_fmac_f32_e32 v0, v20, v42
	v_fma_f32 v3, v17, v43, -v5
	v_fmac_f32_e32 v4, v9, v51
	v_fma_f32 v5, v13, v51, -v7
	;; [unrolled: 2-line block ×7, first 2 shown]
	ds_store_2addr_b64 v39, v[0:1], v[2:3] offset0:78 offset1:91
	ds_store_2addr_b64 v39, v[4:5], v[6:7] offset0:26 offset1:39
	;; [unrolled: 1-line block ×3, first 2 shown]
	ds_store_2addr_b64 v39, v[12:13], v[14:15] offset1:13
	global_wb scope:SCOPE_SE
	s_wait_dscnt 0x0
	s_barrier_signal -1
	s_barrier_wait -1
	global_inv scope:SCOPE_SE
	s_and_saveexec_b32 s4, s5
	s_cbranch_execz .LBB0_20
; %bb.19:
	v_mad_co_u64_u32 v[4:5], null, s14, v36, 0
	v_mad_co_u64_u32 v[6:7], null, s12, v35, 0
	;; [unrolled: 1-line block ×4, first 2 shown]
	s_delay_alu instid0(VALU_DEP_4)
	v_mov_b32_e32 v0, v5
	v_add3_u32 v22, 0, v37, v38
	v_mov_b32_e32 v1, v7
	s_lshl_b64 s[2:3], s[2:3], 3
	s_wait_alu 0xfffe
	s_add_nc_u64 s[0:1], s[0:1], s[2:3]
	s_delay_alu instid0(VALU_DEP_4) | instskip(SKIP_1) | instid1(VALU_DEP_2)
	v_mad_co_u64_u32 v[15:16], null, s13, v33, v[9:10]
	v_mad_co_u64_u32 v[2:3], null, s15, v36, v[0:1]
	v_mov_b32_e32 v9, v15
	s_delay_alu instid0(VALU_DEP_2)
	v_mad_co_u64_u32 v[12:13], null, s13, v35, v[1:2]
	v_mad_co_u64_u32 v[13:14], null, s12, v32, 0
	v_mov_b32_e32 v5, v2
	ds_load_2addr_b64 v[0:3], v22 offset1:13
	v_mov_b32_e32 v7, v12
	v_mad_co_u64_u32 v[11:12], null, s13, v34, v[11:12]
	v_mov_b32_e32 v12, v14
	v_lshlrev_b64_e32 v[4:5], 3, v[4:5]
	s_delay_alu instid0(VALU_DEP_4) | instskip(NEXT) | instid1(VALU_DEP_3)
	v_lshlrev_b64_e32 v[6:7], 3, v[6:7]
	v_mad_co_u64_u32 v[14:15], null, s13, v32, v[12:13]
	s_delay_alu instid0(VALU_DEP_3) | instskip(SKIP_1) | instid1(VALU_DEP_4)
	v_add_co_u32 v23, vcc_lo, s0, v4
	s_wait_alu 0xfffd
	v_add_co_ci_u32_e32 v24, vcc_lo, s1, v5, vcc_lo
	v_lshlrev_b64_e32 v[10:11], 3, v[10:11]
	s_delay_alu instid0(VALU_DEP_3) | instskip(SKIP_1) | instid1(VALU_DEP_3)
	v_add_co_u32 v4, vcc_lo, v23, v6
	s_wait_alu 0xfffd
	v_add_co_ci_u32_e32 v5, vcc_lo, v24, v7, vcc_lo
	v_lshlrev_b64_e32 v[6:7], 3, v[8:9]
	v_mad_co_u64_u32 v[8:9], null, s12, v31, 0
	s_wait_dscnt 0x0
	global_store_b64 v[4:5], v[0:1], off
	v_mad_co_u64_u32 v[15:16], null, s12, v30, 0
	v_add_co_u32 v0, vcc_lo, v23, v6
	s_wait_alu 0xfffd
	v_add_co_ci_u32_e32 v1, vcc_lo, v24, v7, vcc_lo
	ds_load_2addr_b64 v[4:7], v22 offset0:26 offset1:39
	v_add_co_u32 v10, vcc_lo, v23, v10
	s_wait_alu 0xfffd
	v_add_co_ci_u32_e32 v11, vcc_lo, v24, v11, vcc_lo
	global_store_b64 v[0:1], v[2:3], off
	s_wait_dscnt 0x0
	global_store_b64 v[10:11], v[4:5], off
	v_mad_co_u64_u32 v[17:18], null, s13, v31, v[9:10]
	v_mov_b32_e32 v9, v16
	v_mad_co_u64_u32 v[18:19], null, s12, v29, 0
	v_mad_co_u64_u32 v[4:5], null, s12, v28, 0
	s_delay_alu instid0(VALU_DEP_3) | instskip(SKIP_1) | instid1(VALU_DEP_4)
	v_mad_co_u64_u32 v[20:21], null, s13, v30, v[9:10]
	v_lshlrev_b64_e32 v[0:1], 3, v[13:14]
	v_dual_mov_b32 v9, v17 :: v_dual_mov_b32 v2, v19
	s_delay_alu instid0(VALU_DEP_3) | instskip(NEXT) | instid1(VALU_DEP_2)
	v_mov_b32_e32 v16, v20
	v_mad_co_u64_u32 v[10:11], null, s13, v29, v[2:3]
	s_delay_alu instid0(VALU_DEP_4) | instskip(NEXT) | instid1(VALU_DEP_3)
	v_add_co_u32 v12, vcc_lo, v23, v0
	v_lshlrev_b64_e32 v[14:15], 3, v[15:16]
	v_mad_co_u64_u32 v[16:17], null, s13, v28, v[5:6]
	s_wait_alu 0xfffd
	v_add_co_ci_u32_e32 v13, vcc_lo, v24, v1, vcc_lo
	ds_load_2addr_b64 v[0:3], v22 offset0:52 offset1:65
	v_lshlrev_b64_e32 v[20:21], 3, v[8:9]
	v_mov_b32_e32 v19, v10
	ds_load_2addr_b64 v[8:11], v22 offset0:78 offset1:91
	v_mov_b32_e32 v5, v16
	v_add_co_u32 v20, vcc_lo, v23, v20
	v_lshlrev_b64_e32 v[17:18], 3, v[18:19]
	s_wait_alu 0xfffd
	v_add_co_ci_u32_e32 v21, vcc_lo, v24, v21, vcc_lo
	v_add_co_u32 v14, vcc_lo, v23, v14
	v_lshlrev_b64_e32 v[4:5], 3, v[4:5]
	s_wait_alu 0xfffd
	v_add_co_ci_u32_e32 v15, vcc_lo, v24, v15, vcc_lo
	v_add_co_u32 v16, vcc_lo, v23, v17
	s_wait_alu 0xfffd
	v_add_co_ci_u32_e32 v17, vcc_lo, v24, v18, vcc_lo
	v_add_co_u32 v4, vcc_lo, v23, v4
	s_wait_alu 0xfffd
	v_add_co_ci_u32_e32 v5, vcc_lo, v24, v5, vcc_lo
	global_store_b64 v[12:13], v[6:7], off
	s_wait_dscnt 0x1
	s_clause 0x1
	global_store_b64 v[20:21], v[0:1], off
	global_store_b64 v[14:15], v[2:3], off
	s_wait_dscnt 0x0
	s_clause 0x1
	global_store_b64 v[16:17], v[8:9], off
	global_store_b64 v[4:5], v[10:11], off
.LBB0_20:
	s_nop 0
	s_sendmsg sendmsg(MSG_DEALLOC_VGPRS)
	s_endpgm
	.section	.rodata,"a",@progbits
	.p2align	6, 0x0
	.amdhsa_kernel fft_rtc_back_len104_factors_13_8_wgs_208_tpt_13_sp_ip_CI_sbcc_twdbase5_3step
		.amdhsa_group_segment_fixed_size 0
		.amdhsa_private_segment_fixed_size 0
		.amdhsa_kernarg_size 96
		.amdhsa_user_sgpr_count 2
		.amdhsa_user_sgpr_dispatch_ptr 0
		.amdhsa_user_sgpr_queue_ptr 0
		.amdhsa_user_sgpr_kernarg_segment_ptr 1
		.amdhsa_user_sgpr_dispatch_id 0
		.amdhsa_user_sgpr_private_segment_size 0
		.amdhsa_wavefront_size32 1
		.amdhsa_uses_dynamic_stack 0
		.amdhsa_enable_private_segment 0
		.amdhsa_system_sgpr_workgroup_id_x 1
		.amdhsa_system_sgpr_workgroup_id_y 0
		.amdhsa_system_sgpr_workgroup_id_z 0
		.amdhsa_system_sgpr_workgroup_info 0
		.amdhsa_system_vgpr_workitem_id 0
		.amdhsa_next_free_vgpr 120
		.amdhsa_next_free_sgpr 49
		.amdhsa_reserve_vcc 1
		.amdhsa_float_round_mode_32 0
		.amdhsa_float_round_mode_16_64 0
		.amdhsa_float_denorm_mode_32 3
		.amdhsa_float_denorm_mode_16_64 3
		.amdhsa_fp16_overflow 0
		.amdhsa_workgroup_processor_mode 1
		.amdhsa_memory_ordered 1
		.amdhsa_forward_progress 0
		.amdhsa_round_robin_scheduling 0
		.amdhsa_exception_fp_ieee_invalid_op 0
		.amdhsa_exception_fp_denorm_src 0
		.amdhsa_exception_fp_ieee_div_zero 0
		.amdhsa_exception_fp_ieee_overflow 0
		.amdhsa_exception_fp_ieee_underflow 0
		.amdhsa_exception_fp_ieee_inexact 0
		.amdhsa_exception_int_div_zero 0
	.end_amdhsa_kernel
	.text
.Lfunc_end0:
	.size	fft_rtc_back_len104_factors_13_8_wgs_208_tpt_13_sp_ip_CI_sbcc_twdbase5_3step, .Lfunc_end0-fft_rtc_back_len104_factors_13_8_wgs_208_tpt_13_sp_ip_CI_sbcc_twdbase5_3step
                                        ; -- End function
	.section	.AMDGPU.csdata,"",@progbits
; Kernel info:
; codeLenInByte = 7688
; NumSgprs: 51
; NumVgprs: 120
; ScratchSize: 0
; MemoryBound: 0
; FloatMode: 240
; IeeeMode: 1
; LDSByteSize: 0 bytes/workgroup (compile time only)
; SGPRBlocks: 6
; VGPRBlocks: 14
; NumSGPRsForWavesPerEU: 51
; NumVGPRsForWavesPerEU: 120
; Occupancy: 12
; WaveLimiterHint : 1
; COMPUTE_PGM_RSRC2:SCRATCH_EN: 0
; COMPUTE_PGM_RSRC2:USER_SGPR: 2
; COMPUTE_PGM_RSRC2:TRAP_HANDLER: 0
; COMPUTE_PGM_RSRC2:TGID_X_EN: 1
; COMPUTE_PGM_RSRC2:TGID_Y_EN: 0
; COMPUTE_PGM_RSRC2:TGID_Z_EN: 0
; COMPUTE_PGM_RSRC2:TIDIG_COMP_CNT: 0
	.text
	.p2alignl 7, 3214868480
	.fill 96, 4, 3214868480
	.type	__hip_cuid_22df4af03fd5f077,@object ; @__hip_cuid_22df4af03fd5f077
	.section	.bss,"aw",@nobits
	.globl	__hip_cuid_22df4af03fd5f077
__hip_cuid_22df4af03fd5f077:
	.byte	0                               ; 0x0
	.size	__hip_cuid_22df4af03fd5f077, 1

	.ident	"AMD clang version 19.0.0git (https://github.com/RadeonOpenCompute/llvm-project roc-6.4.0 25133 c7fe45cf4b819c5991fe208aaa96edf142730f1d)"
	.section	".note.GNU-stack","",@progbits
	.addrsig
	.addrsig_sym __hip_cuid_22df4af03fd5f077
	.amdgpu_metadata
---
amdhsa.kernels:
  - .args:
      - .actual_access:  read_only
        .address_space:  global
        .offset:         0
        .size:           8
        .value_kind:     global_buffer
      - .address_space:  global
        .offset:         8
        .size:           8
        .value_kind:     global_buffer
      - .offset:         16
        .size:           8
        .value_kind:     by_value
      - .actual_access:  read_only
        .address_space:  global
        .offset:         24
        .size:           8
        .value_kind:     global_buffer
      - .actual_access:  read_only
        .address_space:  global
        .offset:         32
        .size:           8
        .value_kind:     global_buffer
      - .offset:         40
        .size:           8
        .value_kind:     by_value
      - .actual_access:  read_only
        .address_space:  global
        .offset:         48
        .size:           8
        .value_kind:     global_buffer
      - .actual_access:  read_only
        .address_space:  global
        .offset:         56
        .size:           8
        .value_kind:     global_buffer
      - .offset:         64
        .size:           4
        .value_kind:     by_value
      - .actual_access:  read_only
        .address_space:  global
        .offset:         72
        .size:           8
        .value_kind:     global_buffer
      - .actual_access:  read_only
        .address_space:  global
        .offset:         80
        .size:           8
        .value_kind:     global_buffer
      - .address_space:  global
        .offset:         88
        .size:           8
        .value_kind:     global_buffer
    .group_segment_fixed_size: 0
    .kernarg_segment_align: 8
    .kernarg_segment_size: 96
    .language:       OpenCL C
    .language_version:
      - 2
      - 0
    .max_flat_workgroup_size: 208
    .name:           fft_rtc_back_len104_factors_13_8_wgs_208_tpt_13_sp_ip_CI_sbcc_twdbase5_3step
    .private_segment_fixed_size: 0
    .sgpr_count:     51
    .sgpr_spill_count: 0
    .symbol:         fft_rtc_back_len104_factors_13_8_wgs_208_tpt_13_sp_ip_CI_sbcc_twdbase5_3step.kd
    .uniform_work_group_size: 1
    .uses_dynamic_stack: false
    .vgpr_count:     120
    .vgpr_spill_count: 0
    .wavefront_size: 32
    .workgroup_processor_mode: 1
amdhsa.target:   amdgcn-amd-amdhsa--gfx1201
amdhsa.version:
  - 1
  - 2
...

	.end_amdgpu_metadata
